;; amdgpu-corpus repo=ROCm/rocFFT kind=compiled arch=gfx950 opt=O3
	.text
	.amdgcn_target "amdgcn-amd-amdhsa--gfx950"
	.amdhsa_code_object_version 6
	.protected	bluestein_single_fwd_len24_dim1_sp_op_CI_CI ; -- Begin function bluestein_single_fwd_len24_dim1_sp_op_CI_CI
	.globl	bluestein_single_fwd_len24_dim1_sp_op_CI_CI
	.p2align	8
	.type	bluestein_single_fwd_len24_dim1_sp_op_CI_CI,@function
bluestein_single_fwd_len24_dim1_sp_op_CI_CI: ; @bluestein_single_fwd_len24_dim1_sp_op_CI_CI
; %bb.0:
	s_load_dwordx4 s[8:11], s[0:1], 0x28
	v_lshrrev_b32_e32 v1, 3, v0
	v_lshl_or_b32 v20, s2, 5, v1
	v_mov_b32_e32 v21, 0
	s_waitcnt lgkmcnt(0)
	v_cmp_gt_u64_e32 vcc, s[8:9], v[20:21]
	s_and_saveexec_b64 s[2:3], vcc
	s_cbranch_execz .LBB0_15
; %bb.1:
	s_load_dwordx2 s[8:9], s[0:1], 0x0
	s_load_dwordx2 s[12:13], s[0:1], 0x38
	v_and_b32_e32 v26, 7, v0
	v_mul_u32_u24_e32 v28, 24, v1
	v_cmp_gt_u32_e32 vcc, 3, v26
	v_lshlrev_b32_e32 v27, 3, v26
	v_or_b32_e32 v18, v28, v26
	v_add_lshl_u32 v4, v28, v26, 3
	v_or_b32_e32 v21, 12, v26
	s_and_saveexec_b64 s[2:3], vcc
	s_cbranch_execz .LBB0_3
; %bb.2:
	s_load_dwordx2 s[4:5], s[0:1], 0x18
	v_mov_b32_e32 v0, s10
	v_mov_b32_e32 v1, s11
	v_lshlrev_b32_e32 v5, 3, v18
	v_lshl_add_u32 v19, v28, 3, v27
	s_waitcnt lgkmcnt(0)
	s_load_dwordx4 s[4:7], s[4:5], 0x0
	s_waitcnt lgkmcnt(0)
	v_mad_u64_u32 v[2:3], s[10:11], s6, v20, 0
	v_mad_u64_u32 v[6:7], s[10:11], s4, v26, 0
	v_mov_b32_e32 v8, v3
	v_mov_b32_e32 v10, v7
	v_mad_u64_u32 v[8:9], s[6:7], s7, v20, v[8:9]
	v_mov_b32_e32 v3, v8
	v_mad_u64_u32 v[8:9], s[6:7], s5, v26, v[10:11]
	v_mad_u64_u32 v[10:11], s[6:7], s4, v21, 0
	v_mov_b32_e32 v7, v8
	v_lshl_add_u64 v[0:1], v[2:3], 3, v[0:1]
	v_mov_b32_e32 v12, v11
	v_lshl_add_u64 v[2:3], v[6:7], 3, v[0:1]
	v_mad_u64_u32 v[12:13], s[6:7], s5, v21, v[12:13]
	v_mad_u64_u32 v[8:9], s[6:7], s4, 24, v[2:3]
	s_mul_i32 s10, s5, 24
	v_mov_b32_e32 v11, v12
	v_add_u32_e32 v9, s10, v9
	v_lshl_add_u64 v[0:1], v[10:11], 3, v[0:1]
	global_load_dwordx2 v[6:7], v27, s[8:9]
	global_load_dwordx2 v[10:11], v[2:3], off
	global_load_dwordx2 v[12:13], v[0:1], off
	global_load_dwordx2 v[14:15], v27, s[8:9] offset:96
	global_load_dwordx2 v[16:17], v[8:9], off
	v_mad_u64_u32 v[0:1], s[6:7], s4, 24, v[8:9]
	v_add_u32_e32 v1, s10, v1
	v_mad_u64_u32 v[2:3], s[6:7], s4, 24, v[0:1]
	v_add_u32_e32 v3, s10, v3
	global_load_dwordx2 v[8:9], v27, s[8:9] offset:24
	global_load_dwordx2 v[22:23], v27, s[8:9] offset:48
	;; [unrolled: 1-line block ×3, first 2 shown]
	global_load_dwordx2 v[30:31], v[0:1], off
	v_mad_u64_u32 v[0:1], s[6:7], s4, 48, v[2:3]
	v_mov_b32_e32 v32, v1
	v_mad_u64_u32 v[32:33], s[6:7], s5, 48, v[32:33]
	global_load_dwordx2 v[2:3], v[2:3], off
	v_mov_b32_e32 v1, v32
	global_load_dwordx2 v[32:33], v[0:1], off
	global_load_dwordx2 v[34:35], v27, s[8:9] offset:120
	v_mad_u64_u32 v[0:1], s[6:7], s4, 24, v[0:1]
	v_add_u32_e32 v1, s10, v1
	global_load_dwordx2 v[36:37], v[0:1], off
	global_load_dwordx2 v[38:39], v27, s[8:9] offset:144
	v_mad_u64_u32 v[0:1], s[4:5], s4, 24, v[0:1]
	v_add_u32_e32 v1, s10, v1
	global_load_dwordx2 v[40:41], v27, s[8:9] offset:168
	global_load_dwordx2 v[42:43], v[0:1], off
	s_waitcnt vmcnt(14)
	v_mul_f32_e32 v0, v11, v7
	v_mul_f32_e32 v1, v10, v7
	v_fmac_f32_e32 v0, v10, v6
	v_fma_f32 v1, v11, v6, -v1
	ds_write_b64 v5, v[0:1]
	s_waitcnt vmcnt(12)
	v_mul_f32_e32 v7, v12, v15
	v_fma_f32 v45, v13, v14, -v7
	v_mul_f32_e32 v44, v13, v15
	s_waitcnt vmcnt(10)
	v_mul_f32_e32 v0, v17, v9
	v_mul_f32_e32 v1, v16, v9
	v_fmac_f32_e32 v0, v16, v8
	v_fma_f32 v1, v17, v8, -v1
	ds_write_b64 v4, v[0:1] offset:24
	s_waitcnt vmcnt(7)
	v_mul_f32_e32 v0, v31, v23
	v_mul_f32_e32 v1, v30, v23
	s_waitcnt vmcnt(6)
	v_mul_f32_e32 v6, v3, v25
	v_mul_f32_e32 v5, v2, v25
	v_fmac_f32_e32 v0, v30, v22
	v_fma_f32 v1, v31, v22, -v1
	v_fmac_f32_e32 v6, v2, v24
	v_fma_f32 v7, v3, v24, -v5
	ds_write2_b64 v19, v[0:1], v[6:7] offset0:6 offset1:9
	s_waitcnt vmcnt(4)
	v_mul_f32_e32 v0, v33, v35
	v_mul_f32_e32 v1, v32, v35
	v_fmac_f32_e32 v44, v12, v14
	v_fmac_f32_e32 v0, v32, v34
	v_fma_f32 v1, v33, v34, -v1
	ds_write2_b64 v19, v[44:45], v[0:1] offset0:12 offset1:15
	s_waitcnt vmcnt(2)
	v_mul_f32_e32 v0, v37, v39
	v_mul_f32_e32 v1, v36, v39
	s_waitcnt vmcnt(0)
	v_mul_f32_e32 v2, v43, v41
	v_mul_f32_e32 v3, v42, v41
	v_fmac_f32_e32 v0, v36, v38
	v_fma_f32 v1, v37, v38, -v1
	v_fmac_f32_e32 v2, v42, v40
	v_fma_f32 v3, v43, v40, -v3
	ds_write2_b64 v19, v[0:1], v[2:3] offset0:18 offset1:21
.LBB0_3:
	s_or_b64 exec, exec, s[2:3]
	s_load_dwordx2 s[2:3], s[0:1], 0x20
	s_load_dwordx2 s[4:5], s[0:1], 0x8
	v_lshlrev_b32_e32 v19, 3, v28
	s_waitcnt lgkmcnt(0)
	s_barrier
	s_waitcnt lgkmcnt(0)
                                        ; implicit-def: $vgpr0
                                        ; implicit-def: $vgpr17
                                        ; implicit-def: $vgpr10
                                        ; implicit-def: $vgpr6
                                        ; implicit-def: $vgpr12
                                        ; implicit-def: $vgpr14
	s_and_saveexec_b64 s[0:1], vcc
	s_cbranch_execz .LBB0_5
; %bb.4:
	v_lshlrev_b32_e32 v5, 3, v18
	v_lshl_add_u32 v6, v26, 3, v19
	ds_read2_b64 v[0:3], v6 offset0:12 offset1:15
	ds_read2_b64 v[8:11], v6 offset0:18 offset1:21
	ds_read_b64 v[14:15], v5
	ds_read_b64 v[12:13], v4 offset:24
	ds_read2_b64 v[4:7], v6 offset0:6 offset1:9
	s_waitcnt lgkmcnt(4)
	v_mov_b32_e32 v17, v1
	s_waitcnt lgkmcnt(3)
	v_mov_b32_e32 v1, v8
	v_mov_b32_e32 v16, v9
.LBB0_5:
	s_or_b64 exec, exec, s[0:1]
	s_waitcnt lgkmcnt(2)
	v_mov_b32_e32 v8, v14
	s_waitcnt lgkmcnt(0)
	v_mov_b32_e32 v9, v4
	v_pk_add_f32 v[8:9], v[8:9], v[0:1] neg_lo:[0,1] neg_hi:[0,1]
	v_mov_b32_e32 v0, v5
	v_mov_b32_e32 v1, v15
	v_pk_add_f32 v[16:17], v[0:1], v[16:17] neg_lo:[0,1] neg_hi:[0,1]
	v_pk_add_f32 v[22:23], v[12:13], v[2:3] neg_lo:[0,1] neg_hi:[0,1]
	;; [unrolled: 1-line block ×3, first 2 shown]
	v_mov_b32_e32 v10, v8
	v_pk_add_f32 v[24:25], v[22:23], v[0:1] op_sel:[0,1] op_sel_hi:[1,0] neg_lo:[0,1] neg_hi:[0,1]
	v_pk_add_f32 v[2:3], v[22:23], v[0:1] op_sel:[0,1] op_sel_hi:[1,0]
	v_mov_b32_e32 v11, v17
	v_mov_b32_e32 v25, v3
	v_pk_fma_f32 v[2:3], v[14:15], 2.0, v[10:11] op_sel_hi:[1,0,1] neg_lo:[0,0,1] neg_hi:[0,0,1]
	v_mov_b32_e32 v14, v9
	v_mov_b32_e32 v15, v16
	v_pk_fma_f32 v[4:5], v[4:5], 2.0, v[14:15] op_sel_hi:[1,0,1] neg_lo:[0,0,1] neg_hi:[0,0,1]
	v_pk_fma_f32 v[14:15], v[12:13], 2.0, v[22:23] op_sel_hi:[1,0,1] neg_lo:[0,0,1] neg_hi:[0,0,1]
	;; [unrolled: 1-line block ×3, first 2 shown]
	v_pk_add_f32 v[0:1], v[2:3], v[4:5] neg_lo:[0,1] neg_hi:[0,1]
	v_pk_add_f32 v[30:31], v[8:9], v[16:17] neg_lo:[0,1] neg_hi:[0,1]
	v_pk_add_f32 v[4:5], v[8:9], v[16:17]
	v_pk_fma_f32 v[2:3], v[2:3], 2.0, v[0:1] op_sel_hi:[1,0,1] neg_lo:[0,0,1] neg_hi:[0,0,1]
	v_mov_b32_e32 v31, v5
	v_pk_add_f32 v[4:5], v[14:15], v[6:7] neg_lo:[0,1] neg_hi:[0,1]
	v_pk_fma_f32 v[12:13], v[10:11], 2.0, v[30:31] op_sel_hi:[1,0,1] neg_lo:[0,0,1] neg_hi:[0,0,1]
	v_pk_fma_f32 v[6:7], v[14:15], 2.0, v[4:5] op_sel_hi:[1,0,1] neg_lo:[0,0,1] neg_hi:[0,0,1]
	;; [unrolled: 1-line block ×3, first 2 shown]
	s_mov_b32 s0, 0x3f3504f3
	v_pk_add_f32 v[8:9], v[2:3], v[6:7] neg_lo:[0,1] neg_hi:[0,1]
	v_pk_mul_f32 v[6:7], v[10:11], s[0:1] op_sel_hi:[1,0]
	v_pk_fma_f32 v[14:15], v[10:11], s[0:1], v[12:13] op_sel_hi:[1,0,1] neg_lo:[1,0,0] neg_hi:[1,0,0]
	v_pk_fma_f32 v[16:17], v[24:25], s[0:1], v[30:31] op_sel_hi:[1,0,1]
	v_pk_add_f32 v[10:11], v[14:15], v[6:7] op_sel:[0,1] op_sel_hi:[1,0] neg_lo:[0,1] neg_hi:[0,1]
	v_pk_add_f32 v[6:7], v[14:15], v[6:7] op_sel:[0,1] op_sel_hi:[1,0]
	v_pk_mul_f32 v[14:15], v[24:25], s[0:1] op_sel_hi:[1,0]
	v_mov_b32_e32 v11, v7
	v_mov_b32_e32 v7, v4
	v_mov_b32_e32 v4, v5
	v_mov_b32_e32 v5, v1
	v_pk_add_f32 v[4:5], v[0:1], v[4:5] neg_lo:[0,1] neg_hi:[0,1]
	v_pk_add_f32 v[6:7], v[6:7], v[0:1]
	s_nop 0
	v_mov_b32_e32 v5, v7
	v_pk_add_f32 v[6:7], v[16:17], v[14:15] op_sel:[0,1] op_sel_hi:[1,0] neg_lo:[0,1] neg_hi:[0,1]
	v_pk_add_f32 v[14:15], v[16:17], v[14:15] op_sel:[0,1] op_sel_hi:[1,0]
	s_barrier
	v_mov_b32_e32 v7, v15
	v_pk_fma_f32 v[14:15], v[30:31], 2.0, v[6:7] op_sel_hi:[1,0,1] neg_lo:[0,0,1] neg_hi:[0,0,1]
	s_and_saveexec_b64 s[0:1], vcc
	s_cbranch_execz .LBB0_7
; %bb.6:
	v_add_lshl_u32 v16, v28, v27, 3
	v_pk_fma_f32 v[22:23], v[2:3], 2.0, v[8:9] op_sel_hi:[1,0,1] neg_lo:[0,0,1] neg_hi:[0,0,1]
	v_pk_fma_f32 v[24:25], v[12:13], 2.0, v[10:11] op_sel_hi:[1,0,1] neg_lo:[0,0,1] neg_hi:[0,0,1]
	;; [unrolled: 1-line block ×3, first 2 shown]
	ds_write_b128 v16, v[22:25]
	ds_write_b128 v16, v[12:15] offset:16
	ds_write_b128 v16, v[8:11] offset:32
	;; [unrolled: 1-line block ×3, first 2 shown]
.LBB0_7:
	s_or_b64 exec, exec, s[0:1]
	v_lshlrev_b32_e32 v0, 4, v26
	s_load_dwordx4 s[0:3], s[2:3], 0x0
	s_waitcnt lgkmcnt(0)
	s_barrier
	global_load_dwordx4 v[0:3], v0, s[4:5]
	v_lshlrev_b32_e32 v30, 3, v18
	ds_read2_b64 v[22:25], v30 offset1:8
	ds_read_b64 v[12:13], v30 offset:128
	v_lshl_add_u32 v29, v26, 3, v19
	s_mov_b32 s4, 0x3f5db3d7
	s_waitcnt vmcnt(0) lgkmcnt(1)
	v_pk_mul_f32 v[16:17], v[24:25], v[0:1] op_sel:[0,1]
	v_mov_b32_e32 v18, v3
	v_pk_fma_f32 v[32:33], v[24:25], v[0:1], v[16:17] op_sel:[0,0,1] op_sel_hi:[1,1,0] neg_lo:[0,0,1] neg_hi:[0,0,1]
	v_pk_fma_f32 v[16:17], v[24:25], v[0:1], v[16:17] op_sel:[0,0,1] op_sel_hi:[1,0,0]
	s_waitcnt lgkmcnt(0)
	v_pk_mul_f32 v[18:19], v[12:13], v[18:19] op_sel_hi:[1,0]
	v_mov_b32_e32 v33, v17
	v_pk_fma_f32 v[16:17], v[12:13], v[2:3], v[18:19] op_sel:[0,0,1] op_sel_hi:[1,1,0] neg_lo:[0,0,1] neg_hi:[0,0,1]
	v_pk_fma_f32 v[12:13], v[12:13], v[2:3], v[18:19] op_sel:[0,0,1] op_sel_hi:[1,0,0]
	s_nop 0
	v_mov_b32_e32 v17, v13
	v_pk_add_f32 v[12:13], v[22:23], v[32:33]
	v_pk_add_f32 v[18:19], v[32:33], v[16:17]
	;; [unrolled: 1-line block ×3, first 2 shown]
	v_pk_add_f32 v[16:17], v[32:33], v[16:17] neg_lo:[0,1] neg_hi:[0,1]
	v_pk_fma_f32 v[18:19], -0.5, v[18:19], v[22:23] op_sel_hi:[0,1,1]
	v_pk_mul_f32 v[16:17], v[16:17], s[4:5] op_sel_hi:[1,0]
	ds_write_b64 v30, v[12:13]
	v_pk_add_f32 v[22:23], v[18:19], v[16:17] op_sel:[0,1] op_sel_hi:[1,0]
	v_pk_add_f32 v[18:19], v[18:19], v[16:17] op_sel:[0,1] op_sel_hi:[1,0] neg_lo:[0,1] neg_hi:[0,1]
	v_mov_b32_e32 v16, v22
	v_mov_b32_e32 v17, v19
	;; [unrolled: 1-line block ×3, first 2 shown]
	ds_write2_b64 v29, v[16:17], v[18:19] offset0:8 offset1:16
	s_waitcnt lgkmcnt(0)
	s_barrier
	s_and_saveexec_b64 s[4:5], vcc
	s_cbranch_execz .LBB0_9
; %bb.8:
	global_load_dwordx2 v[22:23], v27, s[8:9] offset:192
	s_add_u32 s6, s8, 0xc0
	s_addc_u32 s7, s9, 0
	global_load_dwordx2 v[40:41], v27, s[6:7] offset:24
	global_load_dwordx2 v[42:43], v27, s[6:7] offset:48
	;; [unrolled: 1-line block ×7, first 2 shown]
	ds_read_b64 v[24:25], v30
	s_waitcnt vmcnt(7) lgkmcnt(0)
	v_mul_f32_e32 v31, v25, v23
	v_mul_f32_e32 v33, v24, v23
	v_fma_f32 v32, v24, v22, -v31
	v_fmac_f32_e32 v33, v25, v22
	ds_write_b64 v30, v[32:33]
	ds_read2_b64 v[22:25], v29 offset0:3 offset1:6
	ds_read2_b64 v[32:35], v29 offset0:9 offset1:12
	;; [unrolled: 1-line block ×3, first 2 shown]
	ds_read_b64 v[54:55], v29 offset:168
	s_waitcnt vmcnt(6) lgkmcnt(3)
	v_mul_f32_e32 v31, v23, v41
	v_mul_f32_e32 v57, v22, v41
	s_waitcnt vmcnt(5)
	v_mul_f32_e32 v58, v25, v43
	v_mul_f32_e32 v41, v24, v43
	s_waitcnt vmcnt(4) lgkmcnt(2)
	v_mul_f32_e32 v59, v33, v45
	v_mul_f32_e32 v43, v32, v45
	s_waitcnt vmcnt(3)
	v_mul_f32_e32 v60, v35, v47
	v_mul_f32_e32 v45, v34, v47
	;; [unrolled: 6-line block ×3, first 2 shown]
	s_waitcnt vmcnt(0) lgkmcnt(0)
	v_mul_f32_e32 v63, v55, v53
	v_mul_f32_e32 v51, v54, v53
	v_fma_f32 v56, v22, v40, -v31
	v_fmac_f32_e32 v57, v23, v40
	v_fma_f32 v40, v24, v42, -v58
	v_fmac_f32_e32 v41, v25, v42
	;; [unrolled: 2-line block ×7, first 2 shown]
	ds_write2_b64 v29, v[56:57], v[40:41] offset0:3 offset1:6
	ds_write2_b64 v29, v[42:43], v[44:45] offset0:9 offset1:12
	;; [unrolled: 1-line block ×3, first 2 shown]
	ds_write_b64 v29, v[50:51] offset:168
.LBB0_9:
	s_or_b64 exec, exec, s[4:5]
	s_waitcnt lgkmcnt(0)
	s_barrier
	s_and_saveexec_b64 s[4:5], vcc
	s_cbranch_execz .LBB0_11
; %bb.10:
	ds_read2_b64 v[22:25], v29 offset0:9 offset1:12
	ds_read2_b64 v[16:19], v29 offset0:3 offset1:6
	ds_read2_b64 v[32:35], v29 offset0:15 offset1:18
	ds_read_b64 v[12:13], v30
	ds_read_b64 v[6:7], v29 offset:168
	s_waitcnt lgkmcnt(4)
	v_mov_b64_e32 v[8:9], v[24:25]
	v_mov_b64_e32 v[14:15], v[22:23]
	s_waitcnt lgkmcnt(2)
	v_mov_b32_e32 v4, v34
	v_mov_b32_e32 v5, v35
	;; [unrolled: 1-line block ×4, first 2 shown]
.LBB0_11:
	s_or_b64 exec, exec, s[4:5]
	v_mov_b32_e32 v24, v0
	v_mov_b32_e32 v25, v0
	;; [unrolled: 1-line block ×6, first 2 shown]
	s_waitcnt lgkmcnt(0)
	s_barrier
	s_and_saveexec_b64 s[4:5], vcc
	s_cbranch_execz .LBB0_13
; %bb.12:
	v_pk_add_f32 v[32:33], v[12:13], v[8:9] neg_lo:[0,1] neg_hi:[0,1]
	v_pk_add_f32 v[34:35], v[18:19], v[4:5] neg_lo:[0,1] neg_hi:[0,1]
	;; [unrolled: 1-line block ×4, first 2 shown]
	v_pk_fma_f32 v[4:5], v[12:13], 2.0, v[32:33] op_sel_hi:[1,0,1] neg_lo:[0,0,1] neg_hi:[0,0,1]
	v_pk_fma_f32 v[8:9], v[18:19], 2.0, v[34:35] op_sel_hi:[1,0,1] neg_lo:[0,0,1] neg_hi:[0,0,1]
	;; [unrolled: 1-line block ×3, first 2 shown]
	v_pk_add_f32 v[12:13], v[4:5], v[8:9] neg_lo:[0,1] neg_hi:[0,1]
	v_pk_fma_f32 v[8:9], v[16:17], 2.0, v[10:11] op_sel_hi:[1,0,1] neg_lo:[0,0,1] neg_hi:[0,0,1]
	v_pk_fma_f32 v[16:17], v[4:5], 2.0, v[12:13] op_sel_hi:[1,0,1] neg_lo:[0,0,1] neg_hi:[0,0,1]
	v_pk_add_f32 v[14:15], v[8:9], v[14:15] neg_lo:[0,1] neg_hi:[0,1]
	v_pk_add_f32 v[18:19], v[32:33], v[34:35] op_sel:[0,1] op_sel_hi:[1,0] neg_lo:[0,1] neg_hi:[0,1]
	v_pk_fma_f32 v[4:5], v[8:9], 2.0, v[14:15] op_sel_hi:[1,0,1] neg_lo:[0,0,1] neg_hi:[0,0,1]
	s_mov_b32 s6, 0x3f3504f3
	v_pk_add_f32 v[4:5], v[16:17], v[4:5] neg_lo:[0,1] neg_hi:[0,1]
	v_add_lshl_u32 v28, v28, v27, 3
	v_pk_fma_f32 v[8:9], v[16:17], 2.0, v[4:5] op_sel_hi:[1,0,1] neg_lo:[0,0,1] neg_hi:[0,0,1]
	v_pk_add_f32 v[16:17], v[32:33], v[34:35] op_sel:[0,1] op_sel_hi:[1,0]
	s_nop 0
	v_mov_b32_e32 v17, v19
	v_pk_add_f32 v[18:19], v[10:11], v[6:7] op_sel:[0,1] op_sel_hi:[1,0]
	v_pk_add_f32 v[6:7], v[10:11], v[6:7] op_sel:[0,1] op_sel_hi:[1,0] neg_lo:[0,1] neg_hi:[0,1]
	v_pk_fma_f32 v[32:33], v[32:33], 2.0, v[16:17] op_sel_hi:[1,0,1] neg_lo:[0,0,1] neg_hi:[0,0,1]
	v_mov_b32_e32 v19, v7
	v_pk_fma_f32 v[6:7], v[10:11], 2.0, v[18:19] op_sel_hi:[1,0,1] neg_lo:[0,0,1] neg_hi:[0,0,1]
	s_nop 0
	v_pk_mul_f32 v[10:11], v[6:7], s[6:7] op_sel_hi:[1,0]
	v_pk_fma_f32 v[34:35], v[6:7], s[6:7], v[32:33] op_sel_hi:[1,0,1] neg_lo:[1,0,0] neg_hi:[1,0,0]
	s_nop 0
	v_pk_add_f32 v[6:7], v[34:35], v[10:11] op_sel:[0,1] op_sel_hi:[1,0]
	v_pk_add_f32 v[34:35], v[34:35], v[10:11] op_sel:[0,1] op_sel_hi:[1,0] neg_lo:[0,1] neg_hi:[0,1]
	s_nop 0
	v_mov_b32_e32 v7, v35
	v_pk_fma_f32 v[10:11], v[32:33], 2.0, v[6:7] op_sel_hi:[1,0,1] neg_lo:[0,0,1] neg_hi:[0,0,1]
	ds_write_b128 v28, v[8:11]
	v_pk_add_f32 v[8:9], v[12:13], v[14:15] op_sel:[0,1] op_sel_hi:[1,0]
	v_pk_add_f32 v[32:33], v[12:13], v[14:15] op_sel:[0,1] op_sel_hi:[1,0] neg_lo:[0,1] neg_hi:[0,1]
	v_pk_mul_f32 v[14:15], v[18:19], s[6:7] op_sel_hi:[1,0]
	v_pk_fma_f32 v[18:19], v[18:19], s[6:7], v[16:17] op_sel_hi:[1,0,1]
	v_mov_b32_e32 v9, v33
	v_pk_add_f32 v[10:11], v[18:19], v[14:15] op_sel:[0,1] op_sel_hi:[1,0]
	v_pk_add_f32 v[18:19], v[18:19], v[14:15] op_sel:[0,1] op_sel_hi:[1,0] neg_lo:[0,1] neg_hi:[0,1]
	v_pk_fma_f32 v[12:13], v[12:13], 2.0, v[8:9] op_sel_hi:[1,0,1] neg_lo:[0,0,1] neg_hi:[0,0,1]
	v_mov_b32_e32 v11, v19
	v_pk_fma_f32 v[14:15], v[16:17], 2.0, v[10:11] op_sel_hi:[1,0,1] neg_lo:[0,0,1] neg_hi:[0,0,1]
	ds_write_b128 v28, v[12:15] offset:16
	ds_write_b128 v28, v[4:7] offset:32
	;; [unrolled: 1-line block ×3, first 2 shown]
.LBB0_13:
	s_or_b64 exec, exec, s[4:5]
	s_waitcnt lgkmcnt(0)
	s_barrier
	ds_read2_b64 v[4:7], v30 offset1:8
	ds_read_b64 v[8:9], v30 offset:128
	s_mov_b32 s4, 0x3f5db3d7
	s_waitcnt lgkmcnt(1)
	v_pk_mul_f32 v[0:1], v[0:1], v[6:7]
	s_nop 0
	v_pk_fma_f32 v[10:11], v[24:25], v[6:7], v[0:1] op_sel:[0,0,1] op_sel_hi:[1,1,0]
	v_pk_fma_f32 v[0:1], v[24:25], v[6:7], v[0:1] op_sel:[0,0,1] op_sel_hi:[1,1,0] neg_lo:[0,0,1] neg_hi:[0,0,1]
	s_nop 0
	v_mov_b32_e32 v11, v1
	s_waitcnt lgkmcnt(0)
	v_pk_mul_f32 v[0:1], v[2:3], v[8:9]
	s_nop 0
	v_pk_fma_f32 v[2:3], v[22:23], v[8:9], v[0:1] op_sel:[0,0,1] op_sel_hi:[1,1,0]
	v_pk_fma_f32 v[0:1], v[22:23], v[8:9], v[0:1] op_sel:[0,0,1] op_sel_hi:[1,1,0] neg_lo:[0,0,1] neg_hi:[0,0,1]
	s_nop 0
	v_mov_b32_e32 v3, v1
	v_pk_add_f32 v[0:1], v[4:5], v[10:11]
	s_nop 0
	v_pk_add_f32 v[0:1], v[0:1], v[2:3]
	ds_write_b64 v30, v[0:1]
	v_pk_add_f32 v[0:1], v[10:11], v[2:3]
	v_pk_add_f32 v[2:3], v[10:11], v[2:3] neg_lo:[0,1] neg_hi:[0,1]
	v_pk_fma_f32 v[0:1], -0.5, v[0:1], v[4:5] op_sel_hi:[0,1,1]
	v_pk_mul_f32 v[2:3], v[2:3], s[4:5] op_sel_hi:[1,0]
	s_nop 0
	v_pk_add_f32 v[4:5], v[0:1], v[2:3] op_sel:[0,1] op_sel_hi:[1,0] neg_lo:[0,1] neg_hi:[0,1]
	v_pk_add_f32 v[0:1], v[0:1], v[2:3] op_sel:[0,1] op_sel_hi:[1,0]
	v_mov_b32_e32 v2, v4
	v_mov_b32_e32 v3, v1
	;; [unrolled: 1-line block ×3, first 2 shown]
	ds_write2_b64 v29, v[2:3], v[0:1] offset0:8 offset1:16
	s_waitcnt lgkmcnt(0)
	s_barrier
	s_and_b64 exec, exec, vcc
	s_cbranch_execz .LBB0_15
; %bb.14:
	global_load_dwordx2 v[8:9], v27, s[8:9]
	global_load_dwordx2 v[10:11], v27, s[8:9] offset:24
	global_load_dwordx2 v[12:13], v27, s[8:9] offset:48
	;; [unrolled: 1-line block ×4, first 2 shown]
	ds_read2_b64 v[0:3], v29 offset0:3 offset1:6
	ds_read2_b64 v[4:7], v29 offset0:9 offset1:12
	ds_read_b64 v[30:31], v30
	ds_read_b64 v[32:33], v29 offset:168
	global_load_dwordx2 v[34:35], v27, s[8:9] offset:120
	global_load_dwordx2 v[36:37], v27, s[8:9] offset:144
	;; [unrolled: 1-line block ×3, first 2 shown]
	v_mad_u64_u32 v[22:23], s[4:5], s2, v20, 0
	v_mad_u64_u32 v[24:25], s[6:7], s0, v26, 0
	v_mov_b32_e32 v28, v23
	v_mov_b32_e32 v40, v25
	v_mad_u64_u32 v[42:43], s[2:3], s3, v20, v[28:29]
	v_mov_b32_e32 v18, s12
	v_mov_b32_e32 v19, s13
	;; [unrolled: 3-line block ×3, first 2 shown]
	v_lshl_add_u64 v[18:19], v[22:23], 3, v[18:19]
	v_lshl_add_u64 v[22:23], v[24:25], 3, v[18:19]
	s_mul_i32 s6, s1, 24
	v_mad_u64_u32 v[24:25], s[2:3], s0, 24, v[22:23]
	s_mov_b32 s4, 0x55555555
	v_add_u32_e32 v25, s6, v25
	s_mov_b32 s5, 0x3fa55555
	v_mad_u64_u32 v[26:27], s[2:3], s0, 24, v[24:25]
	v_add_u32_e32 v27, s6, v27
	v_mad_u64_u32 v[40:41], s[2:3], s0, 24, v[26:27]
	v_add_u32_e32 v41, s6, v41
	s_waitcnt vmcnt(7) lgkmcnt(1)
	v_mul_f32_e32 v20, v31, v9
	v_mul_f32_e32 v9, v30, v9
	s_waitcnt vmcnt(6)
	v_mul_f32_e32 v28, v1, v11
	v_mul_f32_e32 v11, v0, v11
	s_waitcnt vmcnt(5)
	;; [unrolled: 3-line block ×3, first 2 shown]
	v_mul_f32_e32 v43, v5, v15
	v_mul_f32_e32 v15, v4, v15
	v_fmac_f32_e32 v20, v30, v8
	v_fma_f32 v8, v8, v31, -v9
	v_fmac_f32_e32 v28, v0, v10
	v_fma_f32 v9, v10, v1, -v11
	;; [unrolled: 2-line block ×4, first 2 shown]
	v_cvt_f64_f32_e32 v[0:1], v20
	v_cvt_f64_f32_e32 v[2:3], v8
	s_waitcnt vmcnt(3)
	v_mul_f32_e32 v44, v7, v17
	v_cvt_f64_f32_e32 v[4:5], v28
	v_cvt_f64_f32_e32 v[8:9], v9
	;; [unrolled: 1-line block ×6, first 2 shown]
	v_mul_f64 v[0:1], v[0:1], s[4:5]
	v_mul_f64 v[2:3], v[2:3], s[4:5]
	v_fmac_f32_e32 v44, v6, v16
	v_mul_f64 v[4:5], v[4:5], s[4:5]
	v_mul_f64 v[8:9], v[8:9], s[4:5]
	;; [unrolled: 1-line block ×6, first 2 shown]
	v_cvt_f32_f64_e32 v0, v[0:1]
	v_cvt_f32_f64_e32 v1, v[2:3]
	;; [unrolled: 1-line block ×8, first 2 shown]
	global_store_dwordx2 v[22:23], v[0:1], off
	global_store_dwordx2 v[24:25], v[2:3], off
	;; [unrolled: 1-line block ×4, first 2 shown]
	v_cvt_f64_f32_e32 v[0:1], v44
	v_mul_f64 v[0:1], v[0:1], s[4:5]
	v_cvt_f32_f64_e32 v4, v[0:1]
	v_mul_f32_e32 v0, v6, v17
	v_fma_f32 v0, v16, v7, -v0
	v_cvt_f64_f32_e32 v[0:1], v0
	v_mul_f64 v[0:1], v[0:1], s[4:5]
	v_cvt_f32_f64_e32 v5, v[0:1]
	v_mad_u64_u32 v[6:7], s[2:3], s0, v21, 0
	ds_read2_b64 v[0:3], v29 offset0:15 offset1:18
	v_mov_b32_e32 v8, v7
	v_mad_u64_u32 v[8:9], s[2:3], s1, v21, v[8:9]
	v_mov_b32_e32 v7, v8
	v_lshl_add_u64 v[6:7], v[6:7], 3, v[18:19]
	global_store_dwordx2 v[6:7], v[4:5], off
	s_waitcnt vmcnt(7) lgkmcnt(0)
	v_mul_f32_e32 v4, v1, v35
	v_fmac_f32_e32 v4, v0, v34
	v_mul_f32_e32 v0, v0, v35
	v_fma_f32 v0, v34, v1, -v0
	v_cvt_f64_f32_e32 v[4:5], v4
	v_cvt_f64_f32_e32 v[0:1], v0
	v_mul_f64 v[4:5], v[4:5], s[4:5]
	v_mul_f64 v[0:1], v[0:1], s[4:5]
	v_cvt_f32_f64_e32 v4, v[4:5]
	v_cvt_f32_f64_e32 v5, v[0:1]
	v_mad_u64_u32 v[0:1], s[2:3], s0, 48, v[40:41]
	v_mov_b32_e32 v6, v1
	v_mad_u64_u32 v[6:7], s[2:3], s1, 48, v[6:7]
	v_mov_b32_e32 v1, v6
	global_store_dwordx2 v[0:1], v[4:5], off
	s_waitcnt vmcnt(7)
	v_mul_f32_e32 v4, v3, v37
	v_fmac_f32_e32 v4, v2, v36
	v_mul_f32_e32 v2, v2, v37
	v_fma_f32 v2, v36, v3, -v2
	v_cvt_f64_f32_e32 v[4:5], v4
	v_cvt_f64_f32_e32 v[2:3], v2
	v_mul_f64 v[4:5], v[4:5], s[4:5]
	v_mul_f64 v[2:3], v[2:3], s[4:5]
	v_cvt_f32_f64_e32 v4, v[4:5]
	v_cvt_f32_f64_e32 v5, v[2:3]
	s_waitcnt vmcnt(6)
	v_mul_f32_e32 v2, v33, v39
	v_fmac_f32_e32 v2, v32, v38
	v_cvt_f64_f32_e32 v[2:3], v2
	v_mul_f64 v[2:3], v[2:3], s[4:5]
	v_mad_u64_u32 v[0:1], s[2:3], s0, 24, v[0:1]
	v_cvt_f32_f64_e32 v2, v[2:3]
	v_mul_f32_e32 v3, v32, v39
	v_add_u32_e32 v1, s6, v1
	v_fma_f32 v3, v38, v33, -v3
	global_store_dwordx2 v[0:1], v[4:5], off
	v_cvt_f64_f32_e32 v[4:5], v3
	v_mul_f64 v[4:5], v[4:5], s[4:5]
	v_mad_u64_u32 v[0:1], s[0:1], s0, 24, v[0:1]
	v_cvt_f32_f64_e32 v3, v[4:5]
	v_add_u32_e32 v1, s6, v1
	global_store_dwordx2 v[0:1], v[2:3], off
.LBB0_15:
	s_endpgm
	.section	.rodata,"a",@progbits
	.p2align	6, 0x0
	.amdhsa_kernel bluestein_single_fwd_len24_dim1_sp_op_CI_CI
		.amdhsa_group_segment_fixed_size 6144
		.amdhsa_private_segment_fixed_size 0
		.amdhsa_kernarg_size 104
		.amdhsa_user_sgpr_count 2
		.amdhsa_user_sgpr_dispatch_ptr 0
		.amdhsa_user_sgpr_queue_ptr 0
		.amdhsa_user_sgpr_kernarg_segment_ptr 1
		.amdhsa_user_sgpr_dispatch_id 0
		.amdhsa_user_sgpr_kernarg_preload_length 0
		.amdhsa_user_sgpr_kernarg_preload_offset 0
		.amdhsa_user_sgpr_private_segment_size 0
		.amdhsa_uses_dynamic_stack 0
		.amdhsa_enable_private_segment 0
		.amdhsa_system_sgpr_workgroup_id_x 1
		.amdhsa_system_sgpr_workgroup_id_y 0
		.amdhsa_system_sgpr_workgroup_id_z 0
		.amdhsa_system_sgpr_workgroup_info 0
		.amdhsa_system_vgpr_workitem_id 0
		.amdhsa_next_free_vgpr 64
		.amdhsa_next_free_sgpr 14
		.amdhsa_accum_offset 64
		.amdhsa_reserve_vcc 1
		.amdhsa_float_round_mode_32 0
		.amdhsa_float_round_mode_16_64 0
		.amdhsa_float_denorm_mode_32 3
		.amdhsa_float_denorm_mode_16_64 3
		.amdhsa_dx10_clamp 1
		.amdhsa_ieee_mode 1
		.amdhsa_fp16_overflow 0
		.amdhsa_tg_split 0
		.amdhsa_exception_fp_ieee_invalid_op 0
		.amdhsa_exception_fp_denorm_src 0
		.amdhsa_exception_fp_ieee_div_zero 0
		.amdhsa_exception_fp_ieee_overflow 0
		.amdhsa_exception_fp_ieee_underflow 0
		.amdhsa_exception_fp_ieee_inexact 0
		.amdhsa_exception_int_div_zero 0
	.end_amdhsa_kernel
	.text
.Lfunc_end0:
	.size	bluestein_single_fwd_len24_dim1_sp_op_CI_CI, .Lfunc_end0-bluestein_single_fwd_len24_dim1_sp_op_CI_CI
                                        ; -- End function
	.section	.AMDGPU.csdata,"",@progbits
; Kernel info:
; codeLenInByte = 3344
; NumSgprs: 20
; NumVgprs: 64
; NumAgprs: 0
; TotalNumVgprs: 64
; ScratchSize: 0
; MemoryBound: 0
; FloatMode: 240
; IeeeMode: 1
; LDSByteSize: 6144 bytes/workgroup (compile time only)
; SGPRBlocks: 2
; VGPRBlocks: 7
; NumSGPRsForWavesPerEU: 20
; NumVGPRsForWavesPerEU: 64
; AccumOffset: 64
; Occupancy: 8
; WaveLimiterHint : 1
; COMPUTE_PGM_RSRC2:SCRATCH_EN: 0
; COMPUTE_PGM_RSRC2:USER_SGPR: 2
; COMPUTE_PGM_RSRC2:TRAP_HANDLER: 0
; COMPUTE_PGM_RSRC2:TGID_X_EN: 1
; COMPUTE_PGM_RSRC2:TGID_Y_EN: 0
; COMPUTE_PGM_RSRC2:TGID_Z_EN: 0
; COMPUTE_PGM_RSRC2:TIDIG_COMP_CNT: 0
; COMPUTE_PGM_RSRC3_GFX90A:ACCUM_OFFSET: 15
; COMPUTE_PGM_RSRC3_GFX90A:TG_SPLIT: 0
	.text
	.p2alignl 6, 3212836864
	.fill 256, 4, 3212836864
	.type	__hip_cuid_4d0f47e699bf2e48,@object ; @__hip_cuid_4d0f47e699bf2e48
	.section	.bss,"aw",@nobits
	.globl	__hip_cuid_4d0f47e699bf2e48
__hip_cuid_4d0f47e699bf2e48:
	.byte	0                               ; 0x0
	.size	__hip_cuid_4d0f47e699bf2e48, 1

	.ident	"AMD clang version 19.0.0git (https://github.com/RadeonOpenCompute/llvm-project roc-6.4.0 25133 c7fe45cf4b819c5991fe208aaa96edf142730f1d)"
	.section	".note.GNU-stack","",@progbits
	.addrsig
	.addrsig_sym __hip_cuid_4d0f47e699bf2e48
	.amdgpu_metadata
---
amdhsa.kernels:
  - .agpr_count:     0
    .args:
      - .actual_access:  read_only
        .address_space:  global
        .offset:         0
        .size:           8
        .value_kind:     global_buffer
      - .actual_access:  read_only
        .address_space:  global
        .offset:         8
        .size:           8
        .value_kind:     global_buffer
      - .actual_access:  read_only
        .address_space:  global
        .offset:         16
        .size:           8
        .value_kind:     global_buffer
      - .actual_access:  read_only
        .address_space:  global
        .offset:         24
        .size:           8
        .value_kind:     global_buffer
      - .actual_access:  read_only
        .address_space:  global
        .offset:         32
        .size:           8
        .value_kind:     global_buffer
      - .offset:         40
        .size:           8
        .value_kind:     by_value
      - .address_space:  global
        .offset:         48
        .size:           8
        .value_kind:     global_buffer
      - .address_space:  global
        .offset:         56
        .size:           8
        .value_kind:     global_buffer
      - .address_space:  global
        .offset:         64
        .size:           8
        .value_kind:     global_buffer
      - .address_space:  global
        .offset:         72
        .size:           8
        .value_kind:     global_buffer
      - .offset:         80
        .size:           4
        .value_kind:     by_value
      - .address_space:  global
        .offset:         88
        .size:           8
        .value_kind:     global_buffer
      - .address_space:  global
        .offset:         96
        .size:           8
        .value_kind:     global_buffer
    .group_segment_fixed_size: 6144
    .kernarg_segment_align: 8
    .kernarg_segment_size: 104
    .language:       OpenCL C
    .language_version:
      - 2
      - 0
    .max_flat_workgroup_size: 256
    .name:           bluestein_single_fwd_len24_dim1_sp_op_CI_CI
    .private_segment_fixed_size: 0
    .sgpr_count:     20
    .sgpr_spill_count: 0
    .symbol:         bluestein_single_fwd_len24_dim1_sp_op_CI_CI.kd
    .uniform_work_group_size: 1
    .uses_dynamic_stack: false
    .vgpr_count:     64
    .vgpr_spill_count: 0
    .wavefront_size: 64
amdhsa.target:   amdgcn-amd-amdhsa--gfx950
amdhsa.version:
  - 1
  - 2
...

	.end_amdgpu_metadata
